;; amdgpu-corpus repo=ROCm/rocFFT kind=compiled arch=gfx950 opt=O3
	.text
	.amdgcn_target "amdgcn-amd-amdhsa--gfx950"
	.amdhsa_code_object_version 6
	.protected	fft_rtc_back_len780_factors_2_3_13_5_2_wgs_234_tpt_78_halfLds_sp_ip_CI_unitstride_sbrr_dirReg ; -- Begin function fft_rtc_back_len780_factors_2_3_13_5_2_wgs_234_tpt_78_halfLds_sp_ip_CI_unitstride_sbrr_dirReg
	.globl	fft_rtc_back_len780_factors_2_3_13_5_2_wgs_234_tpt_78_halfLds_sp_ip_CI_unitstride_sbrr_dirReg
	.p2align	8
	.type	fft_rtc_back_len780_factors_2_3_13_5_2_wgs_234_tpt_78_halfLds_sp_ip_CI_unitstride_sbrr_dirReg,@function
fft_rtc_back_len780_factors_2_3_13_5_2_wgs_234_tpt_78_halfLds_sp_ip_CI_unitstride_sbrr_dirReg: ; @fft_rtc_back_len780_factors_2_3_13_5_2_wgs_234_tpt_78_halfLds_sp_ip_CI_unitstride_sbrr_dirReg
; %bb.0:
	s_load_dwordx2 s[8:9], s[0:1], 0x50
	s_load_dwordx4 s[4:7], s[0:1], 0x0
	s_load_dwordx2 s[10:11], s[0:1], 0x18
	v_mul_u32_u24_e32 v1, 0x349, v0
	v_lshrrev_b32_e32 v2, 16, v1
	v_mad_u64_u32 v[2:3], s[2:3], s2, 3, v[2:3]
	v_mov_b32_e32 v6, 0
	v_mov_b32_e32 v3, v6
	s_waitcnt lgkmcnt(0)
	v_cmp_lt_u64_e64 s[2:3], s[6:7], 2
	s_and_b64 vcc, exec, s[2:3]
	v_mov_b64_e32 v[4:5], 0
	v_mov_b64_e32 v[10:11], v[2:3]
	s_cbranch_vccnz .LBB0_8
; %bb.1:
	s_load_dwordx2 s[2:3], s[0:1], 0x10
	s_add_u32 s12, s10, 8
	s_addc_u32 s13, s11, 0
	s_mov_b64 s[14:15], 1
	v_mov_b64_e32 v[4:5], 0
	s_waitcnt lgkmcnt(0)
	s_add_u32 s16, s2, 8
	s_addc_u32 s17, s3, 0
	v_mov_b64_e32 v[8:9], v[2:3]
.LBB0_2:                                ; =>This Inner Loop Header: Depth=1
	s_load_dwordx2 s[18:19], s[16:17], 0x0
                                        ; implicit-def: $vgpr10_vgpr11
	s_waitcnt lgkmcnt(0)
	v_or_b32_e32 v7, s19, v9
	v_cmp_ne_u64_e32 vcc, 0, v[6:7]
	s_and_saveexec_b64 s[2:3], vcc
	s_xor_b64 s[20:21], exec, s[2:3]
	s_cbranch_execz .LBB0_4
; %bb.3:                                ;   in Loop: Header=BB0_2 Depth=1
	v_cvt_f32_u32_e32 v1, s18
	v_cvt_f32_u32_e32 v3, s19
	s_sub_u32 s2, 0, s18
	s_subb_u32 s3, 0, s19
	v_fmac_f32_e32 v1, 0x4f800000, v3
	v_rcp_f32_e32 v1, v1
	s_nop 0
	v_mul_f32_e32 v1, 0x5f7ffffc, v1
	v_mul_f32_e32 v3, 0x2f800000, v1
	v_trunc_f32_e32 v3, v3
	v_fmac_f32_e32 v1, 0xcf800000, v3
	v_cvt_u32_f32_e32 v3, v3
	v_cvt_u32_f32_e32 v1, v1
	v_mul_lo_u32 v7, s2, v3
	v_mul_hi_u32 v10, s2, v1
	v_mul_lo_u32 v11, s3, v1
	v_add_u32_e32 v7, v10, v7
	v_mul_lo_u32 v14, s2, v1
	v_add_u32_e32 v7, v7, v11
	v_mul_hi_u32 v10, v1, v14
	v_mul_hi_u32 v13, v1, v7
	v_mul_lo_u32 v12, v1, v7
	v_mov_b32_e32 v11, v6
	v_lshl_add_u64 v[10:11], v[10:11], 0, v[12:13]
	v_mul_hi_u32 v13, v3, v14
	v_mul_lo_u32 v14, v3, v14
	v_add_co_u32_e32 v10, vcc, v10, v14
	v_mul_hi_u32 v12, v3, v7
	s_nop 0
	v_addc_co_u32_e32 v10, vcc, v11, v13, vcc
	v_mov_b32_e32 v11, v6
	s_nop 0
	v_addc_co_u32_e32 v13, vcc, 0, v12, vcc
	v_mul_lo_u32 v12, v3, v7
	v_lshl_add_u64 v[10:11], v[10:11], 0, v[12:13]
	v_add_co_u32_e32 v1, vcc, v1, v10
	v_mul_hi_u32 v10, s2, v1
	s_nop 0
	v_addc_co_u32_e32 v3, vcc, v3, v11, vcc
	v_mul_lo_u32 v7, s2, v3
	v_add_u32_e32 v7, v10, v7
	v_mul_lo_u32 v10, s3, v1
	v_add_u32_e32 v7, v7, v10
	v_mul_lo_u32 v12, s2, v1
	v_mul_hi_u32 v15, v3, v12
	v_mul_lo_u32 v16, v3, v12
	v_mul_hi_u32 v11, v1, v7
	;; [unrolled: 2-line block ×3, first 2 shown]
	v_mov_b32_e32 v13, v6
	v_lshl_add_u64 v[10:11], v[12:13], 0, v[10:11]
	v_add_co_u32_e32 v10, vcc, v10, v16
	v_mul_hi_u32 v14, v3, v7
	s_nop 0
	v_addc_co_u32_e32 v10, vcc, v11, v15, vcc
	v_mul_lo_u32 v12, v3, v7
	s_nop 0
	v_addc_co_u32_e32 v13, vcc, 0, v14, vcc
	v_mov_b32_e32 v11, v6
	v_lshl_add_u64 v[10:11], v[10:11], 0, v[12:13]
	v_add_co_u32_e32 v1, vcc, v1, v10
	v_mul_hi_u32 v12, v8, v1
	s_nop 0
	v_addc_co_u32_e32 v3, vcc, v3, v11, vcc
	v_mad_u64_u32 v[10:11], s[2:3], v8, v3, 0
	v_mov_b32_e32 v13, v6
	v_lshl_add_u64 v[10:11], v[12:13], 0, v[10:11]
	v_mad_u64_u32 v[14:15], s[2:3], v9, v1, 0
	v_add_co_u32_e32 v1, vcc, v10, v14
	v_mad_u64_u32 v[12:13], s[2:3], v9, v3, 0
	s_nop 0
	v_addc_co_u32_e32 v10, vcc, v11, v15, vcc
	v_mov_b32_e32 v11, v6
	s_nop 0
	v_addc_co_u32_e32 v13, vcc, 0, v13, vcc
	v_lshl_add_u64 v[10:11], v[10:11], 0, v[12:13]
	v_mul_lo_u32 v1, s19, v10
	v_mul_lo_u32 v3, s18, v11
	v_mad_u64_u32 v[12:13], s[2:3], s18, v10, 0
	v_add3_u32 v1, v13, v3, v1
	v_sub_u32_e32 v3, v9, v1
	v_mov_b32_e32 v7, s19
	v_sub_co_u32_e32 v16, vcc, v8, v12
	v_lshl_add_u64 v[14:15], v[10:11], 0, 1
	s_nop 0
	v_subb_co_u32_e64 v3, s[2:3], v3, v7, vcc
	v_subrev_co_u32_e64 v7, s[2:3], s18, v16
	v_subb_co_u32_e32 v1, vcc, v9, v1, vcc
	s_nop 0
	v_subbrev_co_u32_e64 v3, s[2:3], 0, v3, s[2:3]
	v_cmp_le_u32_e64 s[2:3], s19, v3
	v_cmp_le_u32_e32 vcc, s19, v1
	s_nop 0
	v_cndmask_b32_e64 v12, 0, -1, s[2:3]
	v_cmp_le_u32_e64 s[2:3], s18, v7
	s_nop 1
	v_cndmask_b32_e64 v7, 0, -1, s[2:3]
	v_cmp_eq_u32_e64 s[2:3], s19, v3
	s_nop 1
	v_cndmask_b32_e64 v3, v12, v7, s[2:3]
	v_lshl_add_u64 v[12:13], v[10:11], 0, 2
	v_cmp_ne_u32_e64 s[2:3], 0, v3
	v_cndmask_b32_e64 v7, 0, -1, vcc
	v_cmp_le_u32_e32 vcc, s18, v16
	v_cndmask_b32_e64 v3, v15, v13, s[2:3]
	s_nop 0
	v_cndmask_b32_e64 v13, 0, -1, vcc
	v_cmp_eq_u32_e32 vcc, s19, v1
	s_nop 1
	v_cndmask_b32_e32 v1, v7, v13, vcc
	v_cmp_ne_u32_e32 vcc, 0, v1
	v_cndmask_b32_e64 v1, v14, v12, s[2:3]
	s_nop 0
	v_cndmask_b32_e32 v11, v11, v3, vcc
	v_cndmask_b32_e32 v10, v10, v1, vcc
.LBB0_4:                                ;   in Loop: Header=BB0_2 Depth=1
	s_andn2_saveexec_b64 s[2:3], s[20:21]
	s_cbranch_execz .LBB0_6
; %bb.5:                                ;   in Loop: Header=BB0_2 Depth=1
	v_cvt_f32_u32_e32 v1, s18
	s_sub_i32 s20, 0, s18
	v_mov_b32_e32 v11, v6
	v_rcp_iflag_f32_e32 v1, v1
	s_nop 0
	v_mul_f32_e32 v1, 0x4f7ffffe, v1
	v_cvt_u32_f32_e32 v1, v1
	v_mul_lo_u32 v3, s20, v1
	v_mul_hi_u32 v3, v1, v3
	v_add_u32_e32 v1, v1, v3
	v_mul_hi_u32 v1, v8, v1
	v_mul_lo_u32 v3, v1, s18
	v_sub_u32_e32 v3, v8, v3
	v_add_u32_e32 v7, 1, v1
	v_subrev_u32_e32 v10, s18, v3
	v_cmp_le_u32_e32 vcc, s18, v3
	s_nop 1
	v_cndmask_b32_e32 v3, v3, v10, vcc
	v_cndmask_b32_e32 v1, v1, v7, vcc
	v_add_u32_e32 v7, 1, v1
	v_cmp_le_u32_e32 vcc, s18, v3
	s_nop 1
	v_cndmask_b32_e32 v10, v1, v7, vcc
.LBB0_6:                                ;   in Loop: Header=BB0_2 Depth=1
	s_or_b64 exec, exec, s[2:3]
	v_mad_u64_u32 v[12:13], s[2:3], v10, s18, 0
	s_load_dwordx2 s[2:3], s[12:13], 0x0
	s_add_u32 s14, s14, 1
	v_mul_lo_u32 v1, v11, s18
	v_mul_lo_u32 v3, v10, s19
	s_addc_u32 s15, s15, 0
	v_add3_u32 v1, v13, v3, v1
	v_sub_co_u32_e32 v3, vcc, v8, v12
	s_add_u32 s12, s12, 8
	s_nop 0
	v_subb_co_u32_e32 v1, vcc, v9, v1, vcc
	s_addc_u32 s13, s13, 0
	v_mov_b64_e32 v[8:9], s[6:7]
	s_waitcnt lgkmcnt(0)
	v_mul_lo_u32 v1, s2, v1
	v_mul_lo_u32 v7, s3, v3
	v_mad_u64_u32 v[4:5], s[2:3], s2, v3, v[4:5]
	s_add_u32 s16, s16, 8
	v_cmp_ge_u64_e32 vcc, s[14:15], v[8:9]
	v_add3_u32 v5, v7, v5, v1
	s_addc_u32 s17, s17, 0
	s_cbranch_vccnz .LBB0_8
; %bb.7:                                ;   in Loop: Header=BB0_2 Depth=1
	v_mov_b64_e32 v[8:9], v[10:11]
	s_branch .LBB0_2
.LBB0_8:
	s_lshl_b64 s[2:3], s[6:7], 3
	s_add_u32 s2, s10, s2
	s_addc_u32 s3, s11, s3
	s_load_dwordx2 s[6:7], s[2:3], 0x0
	s_load_dwordx2 s[10:11], s[0:1], 0x20
	s_mov_b32 s2, 0x3483484
	v_mov_b64_e32 v[8:9], 0
	v_mov_b64_e32 v[12:13], v[8:9]
	s_waitcnt lgkmcnt(0)
	v_mul_lo_u32 v1, s6, v11
	v_mul_lo_u32 v3, s7, v10
	v_mad_u64_u32 v[6:7], s[0:1], s6, v10, v[4:5]
	v_add3_u32 v7, v3, v7, v1
	v_mul_hi_u32 v1, v0, s2
	v_mul_u32_u24_e32 v1, 0x4e, v1
	v_cmp_gt_u64_e64 s[0:1], s[10:11], v[10:11]
	v_sub_u32_e32 v4, v0, v1
	v_lshl_add_u64 v[0:1], v[6:7], 3, s[8:9]
	v_mov_b64_e32 v[16:17], v[8:9]
	v_mov_b64_e32 v[18:19], v[8:9]
	;; [unrolled: 1-line block ×3, first 2 shown]
                                        ; implicit-def: $vgpr30
                                        ; implicit-def: $vgpr20
                                        ; implicit-def: $vgpr28
                                        ; implicit-def: $vgpr32
                                        ; implicit-def: $vgpr34
	s_and_saveexec_b64 s[2:3], s[0:1]
	s_cbranch_execz .LBB0_10
; %bb.9:
	v_mov_b32_e32 v5, 0
	v_lshl_add_u64 v[6:7], v[4:5], 3, v[0:1]
	v_add_co_u32_e32 v10, vcc, 0x1000, v6
	s_nop 1
	v_addc_co_u32_e32 v11, vcc, 0, v7, vcc
	global_load_dwordx2 v[20:21], v[6:7], off offset:3744
	global_load_dwordx2 v[28:29], v[10:11], off offset:272
	global_load_dwordx2 v[8:9], v[6:7], off
	global_load_dwordx2 v[12:13], v[6:7], off offset:624
	global_load_dwordx2 v[16:17], v[6:7], off offset:1248
	;; [unrolled: 1-line block ×7, first 2 shown]
.LBB0_10:
	s_or_b64 exec, exec, s[2:3]
	s_mov_b32 s2, 0xaaaaaaab
	v_mul_hi_u32 v3, v2, s2
	v_lshrrev_b32_e32 v3, 1, v3
	v_lshl_add_u32 v3, v3, 1, v3
	v_sub_u32_e32 v2, v2, v3
	v_mul_u32_u24_e32 v5, 0x30c, v2
	s_waitcnt vmcnt(6)
	v_sub_f32_e32 v11, v12, v20
	v_lshlrev_b32_e32 v5, 2, v5
	v_fma_f32 v10, v12, 2.0, -v11
	s_waitcnt vmcnt(0)
	v_sub_f32_e32 v3, v22, v32
	v_add_u32_e32 v12, 0, v5
	v_add_u32_e32 v42, 0x138, v4
	v_sub_f32_e32 v7, v8, v30
	v_fma_f32 v2, v22, 2.0, -v3
	v_lshl_add_u32 v30, v42, 3, v12
	ds_write_b64 v30, v[2:3]
	v_lshlrev_b32_e32 v2, 2, v4
	v_fma_f32 v6, v8, 2.0, -v7
	v_sub_f32_e32 v25, v16, v28
	v_sub_f32_e32 v27, v18, v34
	v_add_u32_e32 v46, 0x4e, v4
	v_add_u32_e32 v45, 0x9c, v4
	;; [unrolled: 1-line block ×3, first 2 shown]
	v_add3_u32 v44, 0, v2, v5
	v_fma_f32 v24, v16, 2.0, -v25
	v_fma_f32 v26, v18, 2.0, -v27
	v_lshl_add_u32 v14, v4, 3, v12
	v_lshl_add_u32 v18, v46, 3, v12
	;; [unrolled: 1-line block ×4, first 2 shown]
	v_add_u32_e32 v43, v12, v2
	v_add_u32_e32 v32, 0x400, v44
	;; [unrolled: 1-line block ×4, first 2 shown]
	ds_write_b64 v14, v[6:7]
	ds_write_b64 v18, v[10:11]
	;; [unrolled: 1-line block ×4, first 2 shown]
	s_waitcnt lgkmcnt(0)
	s_barrier
	ds_read_b32 v15, v43
	ds_read2_b32 v[24:25], v32 offset0:4 offset1:82
	ds_read2_b32 v[6:7], v34 offset0:32 offset1:136
	;; [unrolled: 1-line block ×4, first 2 shown]
	v_cmp_lt_u32_e64 s[2:3], 25, v4
	v_cmp_gt_u32_e32 vcc, 26, v4
                                        ; implicit-def: $vgpr12
                                        ; implicit-def: $vgpr16
	s_and_saveexec_b64 s[6:7], vcc
	s_cbranch_execz .LBB0_12
; %bb.11:
	ds_read_b32 v3, v44 offset:936
	ds_read_b32 v16, v44 offset:1976
	;; [unrolled: 1-line block ×3, first 2 shown]
.LBB0_12:
	s_or_b64 exec, exec, s[6:7]
	v_sub_f32_e32 v39, v9, v31
	v_fma_f32 v38, v9, 2.0, -v39
	v_sub_f32_e32 v41, v13, v21
	v_sub_f32_e32 v49, v17, v29
	;; [unrolled: 1-line block ×4, first 2 shown]
	v_fma_f32 v40, v13, 2.0, -v41
	v_fma_f32 v48, v17, 2.0, -v49
	;; [unrolled: 1-line block ×4, first 2 shown]
	s_waitcnt lgkmcnt(0)
	s_barrier
	ds_write_b64 v14, v[38:39]
	ds_write_b64 v18, v[40:41]
	;; [unrolled: 1-line block ×5, first 2 shown]
	s_waitcnt lgkmcnt(0)
	s_barrier
	ds_read_b32 v9, v43
	ds_read2_b32 v[28:29], v32 offset0:4 offset1:82
	ds_read2_b32 v[34:35], v34 offset0:32 offset1:136
	;; [unrolled: 1-line block ×4, first 2 shown]
                                        ; implicit-def: $vgpr31
                                        ; implicit-def: $vgpr33
	s_and_saveexec_b64 s[6:7], vcc
	s_cbranch_execz .LBB0_14
; %bb.13:
	ds_read_b32 v21, v44 offset:936
	ds_read_b32 v33, v44 offset:1976
	;; [unrolled: 1-line block ×3, first 2 shown]
.LBB0_14:
	s_or_b64 exec, exec, s[6:7]
	v_and_b32_e32 v47, 1, v4
	v_lshlrev_b32_e32 v13, 4, v47
	global_load_dwordx4 v[36:39], v13, s[4:5]
	s_waitcnt lgkmcnt(3)
	v_mov_b32_e32 v41, v28
	v_mov_b32_e32 v50, v7
	s_waitcnt lgkmcnt(0)
	v_mov_b32_e32 v51, v18
	v_mov_b32_e32 v40, v25
	;; [unrolled: 1-line block ×6, first 2 shown]
	v_mov_b32_e32 v13, 0.5
	v_mov_b32_e32 v32, v6
	v_mov_b32_e32 v14, v10
	;; [unrolled: 1-line block ×8, first 2 shown]
	s_mov_b32 s6, 0x3f5db3d7
	v_lshrrev_b32_e32 v45, 1, v45
	s_barrier
	s_waitcnt vmcnt(0)
	v_mul_f32_e32 v20, v28, v36
	v_mov_b32_e32 v28, v24
	v_mul_f32_e32 v59, v26, v39
	v_mul_f32_e32 v65, v24, v37
	v_pk_mul_f32 v[26:27], v[50:51], v[38:39]
	v_mul_f32_e32 v24, v29, v36
	v_pk_mul_f32 v[28:29], v[28:29], v[36:37]
	v_pk_fma_f32 v[48:49], v[48:49], v[38:39], v[26:27] op_sel:[0,0,1] op_sel_hi:[1,1,0]
	v_pk_fma_f32 v[28:29], v[40:41], v[36:37], v[28:29] op_sel:[0,0,1] op_sel_hi:[1,1,0]
	v_mul_f32_e32 v50, v25, v37
	v_mov_b32_e32 v51, v49
	v_mov_b32_e32 v25, v29
	v_mul_f32_e32 v54, v31, v38
	v_pk_mul_f32 v[74:75], v[30:31], v[38:39]
	v_fma_f32 v26, v18, v38, -v59
	v_pk_add_f32 v[30:31], v[24:25], v[50:51] neg_lo:[0,1] neg_hi:[0,1]
	v_mul_f32_e32 v57, v35, v38
	v_mul_f32_e32 v34, v34, v36
	v_mul_f32_e32 v66, v6, v37
	v_mul_f32_e32 v52, v19, v38
	v_mov_b32_e32 v60, v39
	v_mul_f32_e32 v68, v33, v36
	v_pk_mul_f32 v[32:33], v[32:33], v[36:37]
	v_mov_b32_e32 v67, v48
	v_add_f32_e32 v76, v10, v28
	v_add_f32_e32 v25, v15, v29
	v_mov_b32_e32 v35, v28
	v_pk_add_f32 v[28:29], v[28:29], v[48:49]
	v_add_f32_e32 v59, v30, v26
	v_mul_f32_e32 v70, v16, v37
	v_pk_fma_f32 v[16:17], v[16:17], v[36:37], v[32:33] op_sel:[0,0,1] op_sel_hi:[1,1,0]
	v_pk_fma_f32 v[50:51], v[28:29], 0.5, v[14:15] op_sel_hi:[1,0,1] neg_lo:[1,0,0] neg_hi:[1,0,0]
	v_pk_add_f32 v[32:33], v[34:35], v[66:67] neg_lo:[0,1] neg_hi:[0,1]
	v_pk_fma_f32 v[28:29], v[58:59], v[60:61], v[52:53] neg_lo:[1,0,0] neg_hi:[1,0,0]
	v_mov_b32_e32 v72, v39
	v_pk_add_f32 v[34:35], v[32:33], v[28:29]
	v_mov_b32_e32 v69, v17
	v_mov_b32_e32 v73, v34
	v_pk_fma_f32 v[34:35], v[12:13], v[72:73], v[54:55] neg_lo:[1,0,0] neg_hi:[1,0,0]
	v_mov_b32_e32 v13, v19
	v_pk_fma_f32 v[12:13], v[12:13], v[38:39], v[74:75] op_sel:[0,0,1] op_sel_hi:[1,1,0]
	v_mov_b32_e32 v63, v39
	v_mov_b32_e32 v71, v13
	v_mov_b32_e32 v10, v3
	v_pk_add_f32 v[38:39], v[16:17], v[12:13]
	v_pk_add_f32 v[40:41], v[68:69], v[70:71] neg_lo:[0,1] neg_hi:[0,1]
	v_add_f32_e32 v18, v11, v17
	v_pk_fma_f32 v[58:59], v[38:39], 0.5, v[10:11] op_sel_hi:[1,0,1] neg_lo:[1,0,0] neg_hi:[1,0,0]
	v_pk_add_f32 v[10:11], v[40:41], v[34:35]
	v_mov_b32_e32 v37, v32
	v_mov_b32_e32 v53, v28
	;; [unrolled: 1-line block ×7, first 2 shown]
	v_add_f32_e32 v78, v3, v16
	v_pk_add_f32 v[38:39], v[16:17], v[64:65] neg_lo:[0,1] neg_hi:[0,1]
	v_pk_add_f32 v[16:17], v[36:37], v[52:53] neg_lo:[0,1] neg_hi:[0,1]
	v_pk_fma_f32 v[36:37], v[10:11], v[62:63], v[56:57] neg_lo:[1,0,0] neg_hi:[1,0,0]
	v_mov_b32_e32 v14, v30
	v_mov_b32_e32 v15, v39
	v_pk_mul_f32 v[52:53], v[16:17], s[6:7] op_sel_hi:[1,0]
	v_mov_b32_e32 v27, v37
	v_lshrrev_b32_e32 v20, 1, v46
	v_mov_b32_e32 v19, v59
	v_pk_fma_f32 v[10:11], v[16:17], s[6:7], v[58:59] op_sel_hi:[1,0,1] neg_lo:[1,0,0] neg_hi:[1,0,0]
	v_mov_b32_e32 v59, v12
	v_mov_b32_e32 v55, v53
	;; [unrolled: 1-line block ×3, first 2 shown]
	v_pk_add_f32 v[16:17], v[14:15], v[26:27] neg_lo:[0,1] neg_hi:[0,1]
	v_mul_u32_u24_e32 v20, 6, v20
	v_mov_b32_e32 v54, v13
	v_pk_add_f32 v[12:13], v[52:53], v[58:59]
	v_pk_mul_f32 v[52:53], v[16:17], s[6:7] op_sel_hi:[1,0]
	v_or_b32_e32 v20, v20, v47
	v_mov_b32_e32 v6, v48
	v_mov_b32_e32 v77, v50
	;; [unrolled: 1-line block ×5, first 2 shown]
	v_lshrrev_b32_e32 v3, 1, v4
	v_lshlrev_b32_e32 v20, 2, v20
	v_pk_add_f32 v[14:15], v[18:19], v[54:55]
	v_pk_fma_f32 v[18:19], v[16:17], s[6:7], v[50:51] op_sel_hi:[1,0,1] neg_lo:[1,0,0] neg_hi:[1,0,0]
	v_pk_add_f32 v[16:17], v[76:77], v[6:7]
	v_pk_add_f32 v[6:7], v[24:25], v[48:49]
	v_mul_u32_u24_e32 v3, 6, v3
	v_add3_u32 v48, 0, v20, v5
	v_mul_u32_u24_e32 v20, 6, v45
	v_or_b32_e32 v3, v3, v47
	v_or_b32_e32 v20, v20, v47
	v_lshlrev_b32_e32 v3, 2, v3
	v_lshlrev_b32_e32 v20, 2, v20
	v_add3_u32 v3, 0, v3, v5
	v_add3_u32 v49, 0, v20, v5
	ds_write2_b32 v3, v7, v19 offset1:2
	ds_write_b32 v3, v6 offset:16
	ds_write2_b32 v48, v16, v18 offset1:2
	ds_write_b32 v48, v17 offset:16
	;; [unrolled: 2-line block ×3, first 2 shown]
	s_and_saveexec_b64 s[6:7], s[2:3]
	s_xor_b64 s[6:7], exec, s[6:7]
	s_or_saveexec_b64 s[6:7], s[6:7]
	v_lshrrev_b32_e32 v46, 1, v8
	s_xor_b64 exec, exec, s[6:7]
	s_cbranch_execz .LBB0_16
; %bb.15:
	v_mul_u32_u24_e32 v8, 6, v46
	v_or_b32_e32 v8, v8, v47
	v_lshlrev_b32_e32 v8, 2, v8
	v_add3_u32 v8, 0, v8, v5
	ds_write2_b32 v8, v13, v10 offset1:2
	ds_write_b32 v8, v12 offset:16
.LBB0_16:
	s_or_b64 exec, exec, s[6:7]
	v_cmp_gt_u32_e32 vcc, 60, v4
	s_waitcnt lgkmcnt(0)
	s_barrier
	s_waitcnt lgkmcnt(0)
                                        ; implicit-def: $vgpr25
	s_and_saveexec_b64 s[6:7], vcc
	s_cbranch_execz .LBB0_18
; %bb.17:
	v_add_u32_e32 v6, 0x400, v44
	ds_read_b32 v7, v43
	ds_read2_b32 v[10:11], v44 offset0:60 offset1:120
	ds_read2_b32 v[18:19], v44 offset0:180 offset1:240
	;; [unrolled: 1-line block ×4, first 2 shown]
	v_add_u32_e32 v6, 0x800, v44
	ds_read2_b32 v[52:53], v6 offset0:28 offset1:88
	ds_read2_b32 v[24:25], v6 offset0:148 offset1:208
	s_waitcnt lgkmcnt(5)
	v_mov_b32_e32 v6, v11
	s_waitcnt lgkmcnt(4)
	v_mov_b32_e32 v16, v18
	s_waitcnt lgkmcnt(3)
	v_mov_b32_e32 v17, v12
	v_mov_b32_e32 v14, v13
	s_waitcnt lgkmcnt(2)
	v_mov_b32_e32 v15, v51
	s_waitcnt lgkmcnt(0)
	v_mov_b32_e32 v12, v24
	v_mov_b32_e32 v13, v52
	;; [unrolled: 1-line block ×6, first 2 shown]
.LBB0_18:
	s_or_b64 exec, exec, s[6:7]
	s_mov_b32 s7, 0x3f5db3d7
	v_mov_b32_e32 v51, 0x3f5db3d7
	v_mov_b32_e32 v50, v23
	s_mov_b32 s6, s7
	v_mov_b32_e32 v8, v51
	v_mov_b32_e32 v23, v51
	;; [unrolled: 1-line block ×4, first 2 shown]
	v_pk_add_f32 v[20:21], v[50:51], v[32:33]
	v_pk_mul_f32 v[32:33], v[32:33], s[6:7]
	v_pk_add_f32 v[50:51], v[22:23], v[30:31]
	v_pk_mul_f32 v[54:55], v[30:31], s[6:7]
	v_pk_add_f32 v[30:31], v[8:9], v[38:39]
	v_add_f32_e32 v8, v39, v37
	v_mov_b32_e32 v21, v33
	v_pk_add_f32 v[22:23], v[52:53], v[40:41]
	v_pk_mul_f32 v[40:41], v[40:41], s[6:7]
	v_pk_mul_f32 v[52:53], v[38:39], s[6:7]
	v_fmac_f32_e32 v9, -0.5, v8
	v_mov_b32_e32 v51, v55
	v_pk_add_f32 v[20:21], v[20:21], v[28:29]
	v_mov_b32_e32 v23, v41
	v_mov_b32_e32 v53, v31
	;; [unrolled: 1-line block ×9, first 2 shown]
	v_pk_add_f32 v[22:23], v[22:23], v[34:35]
	v_pk_add_f32 v[30:31], v[50:51], v[26:27]
	v_pk_add_f32 v[26:27], v[8:9], v[54:55] neg_lo:[0,1] neg_hi:[0,1]
	v_pk_add_f32 v[8:9], v[52:53], v[36:37]
	v_pk_add_f32 v[28:29], v[28:29], v[32:33] neg_lo:[0,1] neg_hi:[0,1]
	s_barrier
	ds_write2_b32 v3, v9, v31 offset1:2
	ds_write_b32 v3, v27 offset:16
	ds_write2_b32 v48, v30, v21 offset1:2
	ds_write_b32 v48, v26 offset:16
	;; [unrolled: 2-line block ×3, first 2 shown]
	s_and_saveexec_b64 s[6:7], s[2:3]
	s_xor_b64 s[2:3], exec, s[6:7]
; %bb.19:
                                        ; implicit-def: $vgpr47
; %bb.20:
	s_andn2_saveexec_b64 s[2:3], s[2:3]
	s_cbranch_execz .LBB0_22
; %bb.21:
	v_mul_u32_u24_e32 v3, 6, v46
	v_or_b32_e32 v3, v3, v47
	v_lshlrev_b32_e32 v3, 2, v3
	v_add3_u32 v3, 0, v3, v5
	ds_write2_b32 v3, v22, v8 offset1:2
	ds_write_b32 v3, v29 offset:16
.LBB0_22:
	s_or_b64 exec, exec, s[2:3]
	s_waitcnt lgkmcnt(0)
	s_barrier
	s_waitcnt lgkmcnt(0)
                                        ; implicit-def: $vgpr33
	s_and_saveexec_b64 s[2:3], vcc
	s_cbranch_execz .LBB0_24
; %bb.23:
	v_add_u32_e32 v3, 0x400, v44
	ds_read_b32 v9, v43
	ds_read2_b32 v[34:35], v44 offset0:60 offset1:120
	ds_read2_b32 v[30:31], v44 offset0:180 offset1:240
	;; [unrolled: 1-line block ×4, first 2 shown]
	v_add_u32_e32 v3, 0x800, v44
	ds_read2_b32 v[36:37], v3 offset0:28 offset1:88
	ds_read2_b32 v[32:33], v3 offset0:148 offset1:208
	s_waitcnt lgkmcnt(3)
	v_mov_b32_e32 v28, v21
	v_mov_b32_e32 v23, v20
	s_waitcnt lgkmcnt(2)
	v_mov_b32_e32 v20, v27
	v_mov_b32_e32 v21, v31
	v_mov_b32_e32 v27, v35
	v_mov_b32_e32 v31, v34
	s_waitcnt lgkmcnt(1)
	v_mov_b32_e32 v8, v37
	v_mov_b32_e32 v22, v36
	s_waitcnt lgkmcnt(0)
	v_mov_b32_e32 v29, v32
.LBB0_24:
	s_or_b64 exec, exec, s[2:3]
	s_movk_i32 s2, 0xab
	v_mul_lo_u16_sdwa v3, v4, s2 dst_sel:DWORD dst_unused:UNUSED_PAD src0_sel:BYTE_0 src1_sel:DWORD
	v_lshrrev_b16_e32 v3, 10, v3
	v_mul_lo_u16_e32 v24, 6, v3
	v_sub_u16_e32 v24, v4, v24
	v_mov_b32_e32 v32, 12
	v_mul_u32_u24_sdwa v32, v24, v32 dst_sel:DWORD dst_unused:UNUSED_PAD src0_sel:BYTE_0 src1_sel:DWORD
	v_lshlrev_b32_e32 v32, 3, v32
	global_load_dwordx4 v[48:51], v32, s[4:5] offset:32
	global_load_dwordx4 v[52:55], v32, s[4:5] offset:48
	;; [unrolled: 1-line block ×6, first 2 shown]
	s_barrier
	s_waitcnt vmcnt(5)
	v_mul_f32_e32 v41, v31, v49
	v_mul_f32_e32 v37, v19, v49
	v_mul_f32_e32 v39, v27, v51
	v_mul_f32_e32 v38, v6, v51
	s_waitcnt vmcnt(4)
	v_mul_f32_e32 v36, v30, v53
	v_mul_f32_e32 v47, v16, v53
	v_mul_f32_e32 v49, v18, v55
	v_mul_f32_e32 v35, v21, v55
	s_waitcnt vmcnt(3)
	v_mul_f32_e32 v34, v26, v57
	v_mul_f32_e32 v51, v17, v57
	v_mul_f32_e32 v32, v20, v59
	v_mul_f32_e32 v53, v14, v59
	v_fmac_f32_e32 v41, v19, v48
	v_fma_f32 v48, v31, v48, -v37
	v_fmac_f32_e32 v39, v6, v50
	v_fma_f32 v40, v27, v50, -v38
	s_waitcnt vmcnt(2)
	v_mul_f32_e32 v19, v23, v61
	v_mul_f32_e32 v6, v11, v61
	;; [unrolled: 1-line block ×4, first 2 shown]
	v_fma_f32 v37, v30, v52, -v47
	s_waitcnt vmcnt(1)
	v_mul_f32_e32 v30, v22, v65
	v_mul_f32_e32 v55, v13, v65
	;; [unrolled: 1-line block ×4, first 2 shown]
	v_fmac_f32_e32 v36, v16, v52
	v_fma_f32 v31, v21, v54, -v49
	s_waitcnt vmcnt(0)
	v_mul_f32_e32 v47, v29, v69
	v_mul_f32_e32 v16, v12, v69
	;; [unrolled: 1-line block ×4, first 2 shown]
	v_fmac_f32_e32 v35, v18, v54
	v_fmac_f32_e32 v34, v17, v56
	v_fma_f32 v26, v26, v56, -v51
	v_fma_f32 v18, v20, v58, -v53
	v_fmac_f32_e32 v32, v14, v58
	v_fmac_f32_e32 v27, v15, v62
	;; [unrolled: 1-line block ×3, first 2 shown]
	v_fma_f32 v23, v23, v60, -v6
	v_fma_f32 v28, v28, v62, -v50
	v_fmac_f32_e32 v30, v13, v64
	v_fma_f32 v22, v22, v64, -v55
	v_fmac_f32_e32 v38, v10, v66
	;; [unrolled: 2-line block ×4, first 2 shown]
	v_fma_f32 v33, v33, v70, -v21
	s_and_saveexec_b64 s[2:3], vcc
	s_cbranch_execz .LBB0_26
; %bb.25:
	v_sub_f32_e32 v10, v48, v33
	v_add_f32_e32 v6, v41, v49
	v_mul_f32_e32 v11, 0xbe750f2a, v10
	s_mov_b32 s6, 0xbf788fa5
	v_sub_f32_e32 v14, v40, v29
	v_fma_f32 v12, v6, s6, -v11
	v_add_f32_e32 v13, v39, v47
	v_mul_f32_e32 v15, 0x3eedf032, v14
	s_mov_b32 s7, 0x3f62ad3f
	v_add_f32_e32 v12, v7, v12
	v_fma_f32 v16, v13, s7, -v15
	v_sub_f32_e32 v17, v37, v8
	v_add_f32_e32 v12, v16, v12
	v_add_f32_e32 v16, v36, v38
	v_mul_f32_e32 v20, 0xbf29c268, v17
	s_mov_b32 s8, 0xbf3f9e67
	v_fma_f32 v21, v16, s8, -v20
	v_sub_f32_e32 v25, v31, v22
	v_fmac_f32_e32 v11, 0xbf788fa5, v6
	v_add_f32_e32 v12, v21, v12
	v_add_f32_e32 v21, v35, v30
	v_mul_f32_e32 v50, 0x3f52af12, v25
	s_mov_b32 s9, 0x3f116cb1
	v_add_f32_e32 v11, v7, v11
	v_fmac_f32_e32 v15, 0x3f62ad3f, v13
	v_fma_f32 v51, v21, s9, -v50
	v_sub_f32_e32 v52, v26, v28
	v_add_f32_e32 v11, v15, v11
	v_fmac_f32_e32 v20, 0xbf3f9e67, v16
	v_add_f32_e32 v12, v51, v12
	v_add_f32_e32 v51, v34, v27
	v_mul_f32_e32 v53, 0xbf6f5d39, v52
	s_mov_b32 s10, 0xbeb58ec6
	v_add_f32_e32 v11, v20, v11
	v_fmac_f32_e32 v50, 0x3f116cb1, v21
	v_mul_f32_e32 v15, 0xbf29c268, v10
	v_fma_f32 v54, v51, s10, -v53
	v_sub_f32_e32 v55, v18, v23
	s_mov_b32 s11, 0x3df6dbef
	v_add_f32_e32 v11, v50, v11
	v_fmac_f32_e32 v53, 0xbeb58ec6, v51
	v_fma_f32 v20, v6, s8, -v15
	v_mul_f32_e32 v50, 0x3f7e222b, v14
	v_add_f32_e32 v12, v54, v12
	v_add_f32_e32 v54, v32, v19
	v_mul_f32_e32 v56, 0x3f7e222b, v55
	v_add_f32_e32 v11, v53, v11
	v_add_f32_e32 v20, v7, v20
	v_fma_f32 v53, v13, s11, -v50
	v_fma_f32 v57, v54, s11, -v56
	v_fmac_f32_e32 v56, 0x3df6dbef, v54
	v_add_f32_e32 v20, v53, v20
	v_mul_f32_e32 v53, 0xbf52af12, v17
	v_add_f32_e32 v11, v56, v11
	v_fma_f32 v56, v16, s9, -v53
	v_fmac_f32_e32 v15, 0xbf3f9e67, v6
	v_add_f32_e32 v20, v56, v20
	v_mul_f32_e32 v56, 0x3e750f2a, v25
	v_add_f32_e32 v15, v7, v15
	v_fmac_f32_e32 v50, 0x3df6dbef, v13
	v_add_f32_e32 v12, v57, v12
	v_fma_f32 v57, v21, s6, -v56
	v_add_f32_e32 v15, v50, v15
	v_fmac_f32_e32 v53, 0x3f116cb1, v16
	v_add_f32_e32 v20, v57, v20
	v_mul_f32_e32 v57, 0x3eedf032, v52
	v_add_f32_e32 v15, v53, v15
	v_fmac_f32_e32 v56, 0xbf788fa5, v21
	v_mul_f32_e32 v50, 0xbf6f5d39, v10
	v_fma_f32 v58, v51, s7, -v57
	v_add_f32_e32 v15, v56, v15
	v_fmac_f32_e32 v57, 0x3f62ad3f, v51
	v_fma_f32 v53, v6, s10, -v50
	v_mul_f32_e32 v56, 0x3f29c268, v14
	v_add_f32_e32 v20, v58, v20
	v_mul_f32_e32 v58, 0xbf6f5d39, v55
	v_add_f32_e32 v15, v57, v15
	v_add_f32_e32 v53, v7, v53
	v_fma_f32 v57, v13, s8, -v56
	v_fma_f32 v59, v54, s10, -v58
	v_fmac_f32_e32 v58, 0xbeb58ec6, v54
	v_add_f32_e32 v53, v57, v53
	v_mul_f32_e32 v57, 0x3eedf032, v17
	v_add_f32_e32 v15, v58, v15
	v_fma_f32 v58, v16, s7, -v57
	v_fmac_f32_e32 v50, 0xbeb58ec6, v6
	v_add_f32_e32 v53, v58, v53
	v_mul_f32_e32 v58, 0xbf7e222b, v25
	v_add_f32_e32 v50, v7, v50
	v_fmac_f32_e32 v56, 0xbf3f9e67, v13
	v_add_f32_e32 v20, v59, v20
	v_fma_f32 v59, v21, s11, -v58
	v_add_f32_e32 v50, v56, v50
	v_fmac_f32_e32 v57, 0x3f62ad3f, v16
	v_add_f32_e32 v53, v59, v53
	v_mul_f32_e32 v59, 0x3e750f2a, v52
	v_add_f32_e32 v50, v57, v50
	v_fmac_f32_e32 v58, 0x3df6dbef, v21
	v_mul_f32_e32 v56, 0xbf7e222b, v10
	v_fma_f32 v60, v51, s6, -v59
	v_add_f32_e32 v50, v58, v50
	v_fmac_f32_e32 v59, 0xbf788fa5, v51
	v_fma_f32 v57, v6, s11, -v56
	v_mul_f32_e32 v58, 0xbe750f2a, v14
	;; [unrolled: 30-line block ×3, first 2 shown]
	v_fmac_f32_e32 v58, 0x3f116cb1, v6
	v_add_f32_e32 v56, v61, v56
	v_fma_f32 v61, v13, s10, -v60
	v_add_f32_e32 v58, v7, v58
	v_fmac_f32_e32 v60, 0xbeb58ec6, v13
	v_mul_f32_e32 v10, 0xbeedf032, v10
	v_add_f32_e32 v58, v60, v58
	v_fma_f32 v60, v6, s7, -v10
	v_fmac_f32_e32 v10, 0x3f62ad3f, v6
	v_add_f32_e32 v59, v7, v59
	v_add_f32_e32 v60, v7, v60
	;; [unrolled: 1-line block ×5, first 2 shown]
	v_mul_f32_e32 v62, 0xbf29c268, v55
	v_add_f32_e32 v7, v7, v39
	v_fma_f32 v63, v54, s8, -v62
	v_fmac_f32_e32 v62, 0xbf3f9e67, v54
	v_add_f32_e32 v59, v61, v59
	v_mul_f32_e32 v61, 0xbe750f2a, v17
	v_add_f32_e32 v7, v7, v36
	v_add_f32_e32 v56, v62, v56
	v_fma_f32 v62, v16, s6, -v61
	v_add_f32_e32 v7, v7, v35
	v_add_f32_e32 v59, v62, v59
	v_mul_f32_e32 v62, 0x3f29c268, v25
	v_fmac_f32_e32 v61, 0xbf788fa5, v16
	v_mul_f32_e32 v14, 0xbf52af12, v14
	v_add_f32_e32 v7, v7, v34
	v_add_f32_e32 v57, v63, v57
	v_fma_f32 v63, v21, s8, -v62
	v_add_f32_e32 v58, v61, v58
	v_fma_f32 v61, v13, s9, -v14
	v_mul_f32_e32 v17, 0xbf7e222b, v17
	v_add_f32_e32 v7, v7, v32
	v_add_f32_e32 v59, v63, v59
	v_mul_f32_e32 v63, 0x3f7e222b, v52
	v_add_f32_e32 v60, v61, v60
	v_fma_f32 v61, v16, s11, -v17
	v_mul_f32_e32 v25, 0xbf6f5d39, v25
	v_fmac_f32_e32 v14, 0x3f116cb1, v13
	v_add_f32_e32 v7, v7, v19
	v_fma_f32 v64, v51, s11, -v63
	v_add_f32_e32 v60, v61, v60
	v_fma_f32 v61, v21, s10, -v25
	v_mul_f32_e32 v52, 0xbf29c268, v52
	v_add_f32_e32 v6, v14, v6
	v_fmac_f32_e32 v17, 0x3df6dbef, v16
	v_add_f32_e32 v7, v7, v27
	v_add_f32_e32 v59, v64, v59
	v_mul_f32_e32 v64, 0x3eedf032, v55
	v_add_f32_e32 v60, v61, v60
	v_fma_f32 v61, v51, s8, -v52
	v_mul_f32_e32 v55, 0xbe750f2a, v55
	v_add_f32_e32 v6, v17, v6
	v_fmac_f32_e32 v25, 0xbeb58ec6, v21
	v_add_f32_e32 v7, v7, v30
	v_fmac_f32_e32 v62, 0xbf3f9e67, v21
	v_add_f32_e32 v60, v61, v60
	v_fma_f32 v61, v54, s6, -v55
	v_add_f32_e32 v6, v25, v6
	v_fmac_f32_e32 v52, 0xbf3f9e67, v51
	v_add_f32_e32 v7, v7, v38
	s_movk_i32 s6, 0x138
	v_mov_b32_e32 v13, 2
	v_add_f32_e32 v58, v62, v58
	v_fmac_f32_e32 v63, 0x3df6dbef, v51
	v_add_f32_e32 v6, v52, v6
	v_fmac_f32_e32 v55, 0xbf788fa5, v54
	v_add_f32_e32 v7, v7, v47
	v_mad_u32_u24 v10, v3, s6, 0
	v_lshlrev_b32_sdwa v13, v13, v24 dst_sel:DWORD dst_unused:UNUSED_PAD src0_sel:DWORD src1_sel:BYTE_0
	v_fma_f32 v65, v54, s7, -v64
	v_add_f32_e32 v58, v63, v58
	v_fmac_f32_e32 v64, 0x3f62ad3f, v54
	v_add_f32_e32 v6, v55, v6
	v_add_f32_e32 v7, v7, v49
	v_add3_u32 v10, v10, v13, v5
	v_add_f32_e32 v59, v65, v59
	v_add_f32_e32 v58, v64, v58
	;; [unrolled: 1-line block ×3, first 2 shown]
	ds_write2_b32 v10, v7, v6 offset1:6
	ds_write2_b32 v10, v58, v56 offset0:12 offset1:18
	ds_write2_b32 v10, v50, v15 offset0:24 offset1:30
	;; [unrolled: 1-line block ×5, first 2 shown]
	ds_write_b32 v10, v60 offset:288
.LBB0_26:
	s_or_b64 exec, exec, s[2:3]
	v_add_u32_e32 v16, 0x200, v44
	v_add_u32_e32 v20, 0x400, v44
	v_add_u32_e32 v21, 0x800, v44
	s_waitcnt lgkmcnt(0)
	s_barrier
	ds_read2_b32 v[6:7], v44 offset0:78 offset1:156
	ds_read2_b32 v[10:11], v16 offset0:106 offset1:184
	ds_read2_b32 v[12:13], v20 offset0:134 offset1:212
	ds_read2_b32 v[14:15], v21 offset0:34 offset1:112
	ds_read_b32 v17, v43
	ds_read_b32 v25, v44 offset:2808
	s_waitcnt lgkmcnt(0)
	s_barrier
	s_and_saveexec_b64 s[2:3], vcc
	s_cbranch_execz .LBB0_28
; %bb.27:
	v_add_f32_e32 v50, v9, v48
	v_add_f32_e32 v50, v50, v40
	;; [unrolled: 1-line block ×13, first 2 shown]
	v_sub_f32_e32 v41, v41, v49
	v_mul_f32_e32 v48, 0x3f62ad3f, v33
	v_mul_f32_e32 v51, 0x3f116cb1, v33
	;; [unrolled: 1-line block ×6, first 2 shown]
	v_fmamk_f32 v49, v41, 0x3eedf032, v48
	v_fmac_f32_e32 v48, 0xbeedf032, v41
	v_fmamk_f32 v52, v41, 0x3f52af12, v51
	v_fmac_f32_e32 v51, 0xbf52af12, v41
	;; [unrolled: 2-line block ×6, first 2 shown]
	v_add_f32_e32 v29, v40, v29
	v_add_f32_e32 v49, v9, v49
	;; [unrolled: 1-line block ×13, first 2 shown]
	v_sub_f32_e32 v33, v39, v47
	v_mul_f32_e32 v39, 0x3f116cb1, v29
	v_fmamk_f32 v40, v33, 0x3f52af12, v39
	v_fmac_f32_e32 v39, 0xbf52af12, v33
	v_mul_f32_e32 v41, 0xbeb58ec6, v29
	v_add_f32_e32 v39, v39, v48
	v_fmamk_f32 v47, v33, 0x3f6f5d39, v41
	v_fmac_f32_e32 v41, 0xbf6f5d39, v33
	v_mul_f32_e32 v48, 0xbf788fa5, v29
	v_add_f32_e32 v40, v40, v49
	v_add_f32_e32 v41, v41, v51
	v_fmamk_f32 v49, v33, 0x3e750f2a, v48
	v_fmac_f32_e32 v48, 0xbe750f2a, v33
	v_mul_f32_e32 v51, 0xbf3f9e67, v29
	v_add_f32_e32 v47, v47, v52
	v_add_f32_e32 v48, v48, v53
	v_fmamk_f32 v52, v33, 0xbf29c268, v51
	v_fmac_f32_e32 v51, 0x3f29c268, v33
	v_mul_f32_e32 v53, 0x3df6dbef, v29
	v_mul_f32_e32 v29, 0x3f62ad3f, v29
	v_add_f32_e32 v51, v51, v55
	v_fmamk_f32 v55, v33, 0xbeedf032, v29
	v_fmac_f32_e32 v29, 0x3eedf032, v33
	v_add_f32_e32 v8, v37, v8
	v_add_f32_e32 v49, v49, v54
	v_fmamk_f32 v54, v33, 0xbf7e222b, v53
	v_fmac_f32_e32 v53, 0x3f7e222b, v33
	v_add_f32_e32 v9, v29, v9
	v_sub_f32_e32 v29, v36, v38
	v_mul_f32_e32 v33, 0x3df6dbef, v8
	v_fmamk_f32 v36, v29, 0x3f7e222b, v33
	v_fmac_f32_e32 v33, 0xbf7e222b, v29
	v_mul_f32_e32 v37, 0xbf788fa5, v8
	v_add_f32_e32 v33, v33, v39
	v_fmamk_f32 v38, v29, 0x3e750f2a, v37
	v_fmac_f32_e32 v37, 0xbe750f2a, v29
	v_mul_f32_e32 v39, 0xbeb58ec6, v8
	v_add_f32_e32 v36, v36, v40
	v_add_f32_e32 v37, v37, v41
	v_fmamk_f32 v40, v29, 0xbf6f5d39, v39
	v_fmac_f32_e32 v39, 0x3f6f5d39, v29
	v_mul_f32_e32 v41, 0x3f62ad3f, v8
	v_add_f32_e32 v38, v38, v47
	v_add_f32_e32 v39, v39, v48
	v_fmamk_f32 v47, v29, 0xbeedf032, v41
	v_fmac_f32_e32 v41, 0x3eedf032, v29
	v_mul_f32_e32 v48, 0x3f116cb1, v8
	v_mul_f32_e32 v8, 0xbf3f9e67, v8
	v_add_f32_e32 v41, v41, v51
	v_fmamk_f32 v51, v29, 0x3f29c268, v8
	v_fmac_f32_e32 v8, 0xbf29c268, v29
	v_add_f32_e32 v8, v8, v9
	v_add_f32_e32 v9, v31, v22
	;; [unrolled: 1-line block ×3, first 2 shown]
	v_fmamk_f32 v49, v29, 0x3f52af12, v48
	v_fmac_f32_e32 v48, 0xbf52af12, v29
	v_sub_f32_e32 v22, v35, v30
	v_mul_f32_e32 v29, 0xbeb58ec6, v9
	v_fmamk_f32 v30, v22, 0x3f6f5d39, v29
	v_fmac_f32_e32 v29, 0xbf6f5d39, v22
	v_mul_f32_e32 v31, 0xbf3f9e67, v9
	v_add_f32_e32 v29, v29, v33
	v_fmamk_f32 v33, v22, 0xbf29c268, v31
	v_fmac_f32_e32 v31, 0x3f29c268, v22
	v_mul_f32_e32 v35, 0x3f62ad3f, v9
	v_add_f32_e32 v30, v30, v36
	v_add_f32_e32 v31, v31, v37
	v_fmamk_f32 v36, v22, 0xbeedf032, v35
	v_fmac_f32_e32 v35, 0x3eedf032, v22
	v_mul_f32_e32 v37, 0x3df6dbef, v9
	v_add_f32_e32 v33, v33, v38
	v_add_f32_e32 v35, v35, v39
	v_fmamk_f32 v38, v22, 0x3f7e222b, v37
	v_fmac_f32_e32 v37, 0xbf7e222b, v22
	v_mul_f32_e32 v39, 0xbf788fa5, v9
	v_mul_f32_e32 v9, 0x3f116cb1, v9
	v_add_f32_e32 v37, v37, v41
	v_fmamk_f32 v41, v22, 0xbf52af12, v9
	v_fmac_f32_e32 v9, 0x3f52af12, v22
	v_add_f32_e32 v8, v9, v8
	v_add_f32_e32 v9, v26, v28
	;; [unrolled: 1-line block ×3, first 2 shown]
	v_fmamk_f32 v40, v22, 0xbe750f2a, v39
	v_fmac_f32_e32 v39, 0x3e750f2a, v22
	v_sub_f32_e32 v22, v34, v27
	v_mul_f32_e32 v26, 0xbf3f9e67, v9
	v_fmamk_f32 v27, v22, 0x3f29c268, v26
	v_fmac_f32_e32 v26, 0xbf29c268, v22
	v_mul_f32_e32 v28, 0x3df6dbef, v9
	v_add_f32_e32 v27, v27, v30
	v_add_f32_e32 v26, v26, v29
	v_fmamk_f32 v29, v22, 0xbf7e222b, v28
	v_fmac_f32_e32 v28, 0x3f7e222b, v22
	v_mul_f32_e32 v30, 0x3f116cb1, v9
	v_add_f32_e32 v29, v29, v33
	v_add_f32_e32 v28, v28, v31
	v_fmamk_f32 v31, v22, 0x3f52af12, v30
	v_fmac_f32_e32 v30, 0xbf52af12, v22
	v_mul_f32_e32 v33, 0xbf788fa5, v9
	v_add_f32_e32 v30, v30, v35
	v_fmamk_f32 v34, v22, 0xbe750f2a, v33
	v_fmac_f32_e32 v33, 0x3e750f2a, v22
	v_mul_f32_e32 v35, 0x3f62ad3f, v9
	v_mul_f32_e32 v9, 0xbeb58ec6, v9
	v_add_f32_e32 v33, v33, v37
	v_fmamk_f32 v37, v22, 0x3f6f5d39, v9
	v_fmac_f32_e32 v9, 0xbf6f5d39, v22
	v_add_f32_e32 v8, v9, v8
	v_add_f32_e32 v9, v18, v23
	v_sub_f32_e32 v18, v32, v19
	v_mul_f32_e32 v19, 0xbf788fa5, v9
	v_add_f32_e32 v31, v31, v36
	v_fmamk_f32 v36, v22, 0xbeedf032, v35
	v_fmac_f32_e32 v35, 0x3eedf032, v22
	v_fmamk_f32 v22, v18, 0x3e750f2a, v19
	v_fmac_f32_e32 v19, 0xbe750f2a, v18
	v_mul_f32_e32 v23, 0x3f62ad3f, v9
	v_add_f32_e32 v22, v22, v27
	v_add_f32_e32 v19, v19, v26
	v_fmamk_f32 v26, v18, 0xbeedf032, v23
	v_fmac_f32_e32 v23, 0x3eedf032, v18
	v_mul_f32_e32 v27, 0xbf3f9e67, v9
	v_add_f32_e32 v26, v26, v29
	v_add_f32_e32 v23, v23, v28
	;; [unrolled: 5-line block ×3, first 2 shown]
	v_fmamk_f32 v30, v18, 0xbf52af12, v29
	v_fmac_f32_e32 v29, 0x3f52af12, v18
	v_mul_f32_e32 v31, 0xbeb58ec6, v9
	v_mul_f32_e32 v9, 0x3df6dbef, v9
	v_add_f32_e32 v52, v52, v56
	v_add_f32_e32 v54, v54, v58
	;; [unrolled: 1-line block ×5, first 2 shown]
	v_fmamk_f32 v33, v18, 0xbf7e222b, v9
	v_fmac_f32_e32 v9, 0x3f7e222b, v18
	v_add_f32_e32 v47, v47, v52
	v_add_f32_e32 v49, v49, v54
	;; [unrolled: 1-line block ×5, first 2 shown]
	s_movk_i32 s6, 0x138
	v_mov_b32_e32 v9, 2
	v_add_f32_e32 v38, v38, v47
	v_add_f32_e32 v40, v40, v49
	;; [unrolled: 1-line block ×4, first 2 shown]
	v_mad_u32_u24 v3, v3, s6, 0
	v_lshlrev_b32_sdwa v9, v9, v24 dst_sel:DWORD dst_unused:UNUSED_PAD src0_sel:DWORD src1_sel:BYTE_0
	v_add_f32_e32 v34, v34, v38
	v_add_f32_e32 v36, v36, v40
	;; [unrolled: 1-line block ×4, first 2 shown]
	v_fmamk_f32 v32, v18, 0x3f6f5d39, v31
	v_fmac_f32_e32 v31, 0xbf6f5d39, v18
	v_add3_u32 v3, v3, v9, v5
	v_add_f32_e32 v30, v30, v34
	v_add_f32_e32 v32, v32, v36
	;; [unrolled: 1-line block ×4, first 2 shown]
	ds_write2_b32 v3, v50, v22 offset1:6
	ds_write2_b32 v3, v26, v28 offset0:12 offset1:18
	ds_write2_b32 v3, v30, v32 offset0:24 offset1:30
	;; [unrolled: 1-line block ×5, first 2 shown]
	ds_write_b32 v3, v19 offset:288
.LBB0_28:
	s_or_b64 exec, exec, s[2:3]
	v_mov_b32_e32 v3, 0
	v_lshl_add_u64 v[8:9], v[2:3], 3, s[4:5]
	s_waitcnt lgkmcnt(0)
	s_barrier
	global_load_dwordx4 v[26:29], v[8:9], off offset:608
	global_load_dwordx4 v[30:33], v[8:9], off offset:624
	ds_read2_b32 v[8:9], v44 offset0:78 offset1:156
	ds_read2_b32 v[18:19], v16 offset0:106 offset1:184
	;; [unrolled: 1-line block ×4, first 2 shown]
	ds_read_b32 v2, v43
	ds_read_b32 v5, v44 offset:2808
	s_waitcnt lgkmcnt(0)
	s_barrier
	s_waitcnt vmcnt(1)
	v_mul_f32_e32 v24, v9, v27
	v_mul_f32_e32 v37, v19, v29
	s_waitcnt vmcnt(0)
	v_mul_f32_e32 v39, v23, v31
	v_mul_f32_e32 v41, v35, v33
	;; [unrolled: 1-line block ×7, first 2 shown]
	v_fmac_f32_e32 v24, v7, v26
	v_fmac_f32_e32 v37, v11, v28
	;; [unrolled: 1-line block ×4, first 2 shown]
	v_mul_f32_e32 v47, v15, v33
	v_mul_f32_e32 v49, v22, v29
	;; [unrolled: 1-line block ×6, first 2 shown]
	v_fma_f32 v7, v9, v26, -v36
	v_fma_f32 v9, v19, v28, -v38
	;; [unrolled: 1-line block ×3, first 2 shown]
	v_fmac_f32_e32 v48, v10, v26
	v_fma_f32 v10, v18, v26, -v27
	v_add_f32_e32 v18, v37, v39
	v_add_f32_e32 v26, v24, v41
	v_mul_f32_e32 v33, v25, v33
	v_fma_f32 v13, v35, v32, -v47
	v_fmac_f32_e32 v49, v12, v28
	v_fma_f32 v12, v22, v28, -v29
	v_fmac_f32_e32 v50, v14, v30
	;; [unrolled: 2-line block ×3, first 2 shown]
	v_add_f32_e32 v15, v17, v24
	v_sub_f32_e32 v22, v9, v11
	v_sub_f32_e32 v23, v24, v37
	;; [unrolled: 1-line block ×5, first 2 shown]
	v_add_f32_e32 v30, v9, v11
	v_fma_f32 v18, -0.5, v18, v17
	v_fmac_f32_e32 v17, -0.5, v26
	v_sub_f32_e32 v19, v7, v13
	v_add_f32_e32 v29, v2, v7
	v_add_f32_e32 v23, v23, v25
	;; [unrolled: 1-line block ×3, first 2 shown]
	v_fma_f32 v27, -0.5, v30, v2
	v_fmamk_f32 v30, v22, 0x3f737871, v17
	v_fmac_f32_e32 v17, 0xbf737871, v22
	v_fma_f32 v5, v5, v32, -v33
	v_sub_f32_e32 v32, v7, v9
	v_add_f32_e32 v26, v29, v9
	v_fmamk_f32 v29, v19, 0xbf737871, v18
	v_fmac_f32_e32 v18, 0x3f737871, v19
	v_fmac_f32_e32 v30, 0xbf167918, v19
	;; [unrolled: 1-line block ×3, first 2 shown]
	v_add_f32_e32 v19, v7, v13
	v_sub_f32_e32 v7, v9, v7
	v_sub_f32_e32 v9, v11, v13
	;; [unrolled: 1-line block ×3, first 2 shown]
	v_fmac_f32_e32 v29, 0xbf167918, v22
	v_fmac_f32_e32 v18, 0x3f167918, v22
	v_fmac_f32_e32 v2, -0.5, v19
	v_add_f32_e32 v7, v7, v9
	v_add_f32_e32 v9, v49, v50
	v_sub_f32_e32 v24, v24, v41
	v_sub_f32_e32 v33, v13, v11
	v_add_f32_e32 v26, v26, v11
	v_fmac_f32_e32 v29, 0x3e9e377a, v23
	v_fmac_f32_e32 v18, 0x3e9e377a, v23
	v_fmamk_f32 v23, v31, 0xbf737871, v2
	v_fmac_f32_e32 v2, 0x3f737871, v31
	v_fma_f32 v9, -0.5, v9, v6
	v_sub_f32_e32 v11, v10, v5
	v_add_f32_e32 v28, v32, v33
	v_fmamk_f32 v32, v24, 0x3f737871, v27
	v_fmac_f32_e32 v27, 0xbf737871, v24
	v_add_f32_e32 v22, v26, v13
	v_fmac_f32_e32 v30, 0x3e9e377a, v25
	v_fmac_f32_e32 v17, 0x3e9e377a, v25
	;; [unrolled: 1-line block ×4, first 2 shown]
	v_fmamk_f32 v13, v11, 0xbf737871, v9
	v_sub_f32_e32 v19, v12, v14
	v_sub_f32_e32 v24, v48, v49
	;; [unrolled: 1-line block ×3, first 2 shown]
	v_fmac_f32_e32 v9, 0x3f737871, v11
	v_fmac_f32_e32 v13, 0xbf167918, v19
	v_add_f32_e32 v24, v24, v25
	v_fmac_f32_e32 v9, 0x3f167918, v19
	v_fmac_f32_e32 v13, 0x3e9e377a, v24
	;; [unrolled: 1-line block ×3, first 2 shown]
	v_add_f32_e32 v24, v48, v51
	v_fmac_f32_e32 v23, 0x3e9e377a, v7
	v_fmac_f32_e32 v2, 0x3e9e377a, v7
	v_add_f32_e32 v7, v6, v48
	v_fmac_f32_e32 v6, -0.5, v24
	v_fmamk_f32 v24, v19, 0x3f737871, v6
	v_sub_f32_e32 v25, v49, v48
	v_sub_f32_e32 v26, v50, v51
	v_fmac_f32_e32 v6, 0xbf737871, v19
	v_fmac_f32_e32 v24, 0xbf167918, v11
	v_add_f32_e32 v25, v25, v26
	v_fmac_f32_e32 v6, 0x3f167918, v11
	v_add_f32_e32 v19, v12, v14
	v_fmac_f32_e32 v32, 0x3f167918, v31
	v_fmac_f32_e32 v27, 0xbf167918, v31
	;; [unrolled: 1-line block ×4, first 2 shown]
	v_fma_f32 v25, -0.5, v19, v8
	v_sub_f32_e32 v19, v48, v51
	v_fmac_f32_e32 v32, 0x3e9e377a, v28
	v_fmac_f32_e32 v27, 0x3e9e377a, v28
	v_fmamk_f32 v26, v19, 0x3f737871, v25
	v_sub_f32_e32 v28, v49, v50
	v_sub_f32_e32 v31, v10, v12
	;; [unrolled: 1-line block ×3, first 2 shown]
	v_fmac_f32_e32 v25, 0xbf737871, v19
	v_add_f32_e32 v11, v8, v10
	v_fmac_f32_e32 v26, 0x3f167918, v28
	v_add_f32_e32 v31, v31, v33
	;; [unrolled: 2-line block ×3, first 2 shown]
	v_fmac_f32_e32 v26, 0x3e9e377a, v31
	v_fmac_f32_e32 v25, 0x3e9e377a, v31
	v_add_f32_e32 v31, v10, v5
	v_add_f32_e32 v11, v11, v14
	v_fmac_f32_e32 v8, -0.5, v31
	v_add_f32_e32 v15, v15, v37
	v_add_f32_e32 v11, v11, v5
	v_fmamk_f32 v31, v28, 0xbf737871, v8
	v_sub_f32_e32 v10, v12, v10
	v_sub_f32_e32 v5, v14, v5
	v_fmac_f32_e32 v8, 0x3f737871, v28
	v_add_f32_e32 v15, v15, v39
	v_add_f32_e32 v7, v7, v49
	v_fmac_f32_e32 v31, 0x3f167918, v19
	v_add_f32_e32 v5, v10, v5
	v_fmac_f32_e32 v8, 0xbf167918, v19
	v_add_f32_e32 v15, v15, v41
	v_add_f32_e32 v7, v7, v50
	v_fmac_f32_e32 v31, 0x3e9e377a, v5
	v_fmac_f32_e32 v8, 0x3e9e377a, v5
	v_add_u32_e32 v5, 0x600, v44
	v_add_f32_e32 v7, v7, v51
	ds_write2_b32 v44, v15, v29 offset1:78
	ds_write2_b32 v44, v30, v17 offset0:156 offset1:234
	ds_write2_b32 v20, v18, v7 offset0:56 offset1:134
	;; [unrolled: 1-line block ×4, first 2 shown]
	s_waitcnt lgkmcnt(0)
	s_barrier
	ds_read2_b32 v[14:15], v20 offset0:134 offset1:212
	ds_read2_b32 v[18:19], v44 offset0:78 offset1:156
	;; [unrolled: 1-line block ×4, first 2 shown]
	ds_read_b32 v10, v43
	ds_read_b32 v6, v44 offset:2808
	s_waitcnt lgkmcnt(0)
	s_barrier
	ds_write2_b32 v44, v22, v32 offset1:78
	ds_write2_b32 v44, v23, v2 offset0:156 offset1:234
	ds_write2_b32 v20, v27, v11 offset0:56 offset1:134
	;; [unrolled: 1-line block ×4, first 2 shown]
	s_waitcnt lgkmcnt(0)
	s_barrier
	s_and_saveexec_b64 s[2:3], s[0:1]
	s_cbranch_execz .LBB0_30
; %bb.29:
	v_mov_b32_e32 v5, v3
	v_lshlrev_b64 v[4:5], 3, v[4:5]
	v_lshl_add_u64 v[8:9], s[4:5], 0, v[4:5]
	global_load_dwordx2 v[20:21], v[8:9], off offset:3104
	global_load_dwordx2 v[22:23], v[8:9], off offset:3728
	s_movk_i32 s0, 0x1000
	v_add_co_u32_e32 v8, vcc, s0, v8
	v_add_u32_e32 v2, 0x200, v44
	s_nop 0
	v_addc_co_u32_e32 v9, vcc, 0, v9, vcc
	global_load_dwordx2 v[24:25], v[8:9], off offset:256
	global_load_dwordx2 v[26:27], v[8:9], off offset:880
	global_load_dwordx2 v[28:29], v[8:9], off offset:1504
	v_add_u32_e32 v7, 0x800, v44
	ds_read2_b32 v[8:9], v44 offset0:78 offset1:156
	v_add_u32_e32 v31, 0x400, v44
	ds_read_b32 v30, v44 offset:2808
	ds_read_b32 v11, v43
	v_lshrrev_b32_e32 v33, 1, v42
	ds_read2_b32 v[40:41], v2 offset0:106 offset1:184
	ds_read2_b32 v[42:43], v7 offset0:34 offset1:112
	;; [unrolled: 1-line block ×3, first 2 shown]
	s_mov_b32 s6, 0xa80a80a9
	v_mov_b32_e32 v32, v18
	v_mov_b32_e32 v18, v15
	;; [unrolled: 1-line block ×3, first 2 shown]
	s_waitcnt lgkmcnt(0)
	v_mov_b32_e32 v50, v49
	v_mul_hi_u32 v2, v45, s6
	v_mul_hi_u32 v7, v46, s6
	v_mul_hi_u32 v31, v33, s6
	v_lshrrev_b32_e32 v2, 7, v2
	v_mov_b32_e32 v33, v8
	v_mov_b32_e32 v8, v19
	;; [unrolled: 1-line block ×6, first 2 shown]
	v_lshl_add_u64 v[0:1], v[0:1], 0, v[4:5]
	v_lshrrev_b32_e32 v7, 7, v7
	v_mul_u32_u24_e32 v2, 0x186, v2
	v_lshrrev_b32_e32 v31, 7, v31
	v_lshl_add_u64 v[4:5], v[2:3], 3, v[0:1]
	v_mul_u32_u24_e32 v2, 0x186, v7
	v_mov_b32_e32 v37, v40
	v_mov_b32_e32 v40, v17
	s_mov_b64 s[0:1], 0x4e0
	v_lshl_add_u64 v[46:47], v[2:3], 3, v[0:1]
	v_mul_u32_u24_e32 v2, 0x186, v31
	s_mov_b64 s[2:3], 0x750
	v_lshl_add_u64 v[44:45], v[4:5], 0, s[0:1]
	v_lshl_add_u64 v[2:3], v[2:3], 3, v[0:1]
	v_lshl_add_u64 v[52:53], v[46:47], 0, s[2:3]
	s_mov_b64 s[4:5], 0x9c0
	v_lshl_add_u64 v[56:57], v[2:3], 0, s[4:5]
	s_waitcnt vmcnt(4)
	v_pk_mul_f32 v[48:49], v[48:49], v[20:21] op_sel_hi:[0,1]
	s_waitcnt vmcnt(3)
	v_pk_mul_f32 v[50:51], v[50:51], v[22:23] op_sel_hi:[0,1]
	v_pk_fma_f32 v[58:59], v[14:15], v[20:21], v[48:49] op_sel:[0,0,1] op_sel_hi:[1,1,0]
	v_pk_fma_f32 v[14:15], v[14:15], v[20:21], v[48:49] op_sel:[0,0,1] op_sel_hi:[0,1,0] neg_lo:[1,0,0] neg_hi:[1,0,0]
	v_pk_fma_f32 v[18:19], v[18:19], v[22:23], v[50:51] op_sel:[0,0,1] op_sel_hi:[1,1,0]
	v_pk_fma_f32 v[20:21], v[34:35], v[22:23], v[50:51] op_sel:[0,0,1] op_sel_hi:[0,1,0] neg_lo:[1,0,0] neg_hi:[1,0,0]
	s_waitcnt vmcnt(2)
	v_pk_mul_f32 v[22:23], v[42:43], v[24:25] op_sel_hi:[0,1]
	s_waitcnt vmcnt(1)
	v_pk_mul_f32 v[34:35], v[54:55], v[26:27] op_sel_hi:[0,1]
	v_mov_b32_e32 v59, v15
	v_pk_fma_f32 v[14:15], v[12:13], v[24:25], v[22:23] op_sel:[0,0,1] op_sel_hi:[1,1,0]
	v_pk_fma_f32 v[12:13], v[12:13], v[24:25], v[22:23] op_sel:[0,0,1] op_sel_hi:[0,1,0] neg_lo:[1,0,0] neg_hi:[1,0,0]
	v_mov_b32_e32 v19, v21
	v_pk_fma_f32 v[16:17], v[16:17], v[26:27], v[34:35] op_sel:[0,0,1] op_sel_hi:[1,1,0]
	v_pk_fma_f32 v[20:21], v[38:39], v[26:27], v[34:35] op_sel:[0,0,1] op_sel_hi:[0,1,0] neg_lo:[1,0,0] neg_hi:[1,0,0]
	v_pk_add_f32 v[22:23], v[10:11], v[58:59] neg_lo:[0,1] neg_hi:[0,1]
	v_mov_b32_e32 v15, v13
	v_pk_add_f32 v[18:19], v[32:33], v[18:19] neg_lo:[0,1] neg_hi:[0,1]
	v_mov_b32_e32 v17, v21
	v_pk_fma_f32 v[10:11], v[10:11], 2.0, v[22:23] op_sel_hi:[1,0,1] neg_lo:[0,0,1] neg_hi:[0,0,1]
	v_pk_add_f32 v[14:15], v[8:9], v[14:15] neg_lo:[0,1] neg_hi:[0,1]
	global_store_dwordx2 v[0:1], v[22:23], off offset:3120
	v_pk_fma_f32 v[12:13], v[32:33], 2.0, v[18:19] op_sel_hi:[1,0,1] neg_lo:[0,0,1] neg_hi:[0,0,1]
	global_store_dwordx2 v[0:1], v[18:19], off offset:3744
	v_pk_add_f32 v[16:17], v[36:37], v[16:17] neg_lo:[0,1] neg_hi:[0,1]
	global_store_dwordx2 v[0:1], v[10:11], off
	global_store_dwordx2 v[0:1], v[12:13], off offset:624
	v_pk_fma_f32 v[0:1], v[8:9], 2.0, v[14:15] op_sel_hi:[1,0,1] neg_lo:[0,0,1] neg_hi:[0,0,1]
	global_store_dwordx2 v[44:45], v[14:15], off offset:3120
	v_pk_fma_f32 v[8:9], v[36:37], 2.0, v[16:17] op_sel_hi:[1,0,1] neg_lo:[0,0,1] neg_hi:[0,0,1]
	global_store_dwordx2 v[4:5], v[0:1], off offset:1248
	global_store_dwordx2 v[46:47], v[8:9], off offset:1872
	;; [unrolled: 1-line block ×3, first 2 shown]
	s_waitcnt vmcnt(8)
	v_pk_mul_f32 v[0:1], v[30:31], v[28:29] op_sel_hi:[0,1]
	v_pk_fma_f32 v[4:5], v[6:7], v[28:29], v[0:1] op_sel:[0,0,1] op_sel_hi:[1,1,0]
	v_pk_fma_f32 v[0:1], v[6:7], v[28:29], v[0:1] op_sel:[0,0,1] op_sel_hi:[0,1,0] neg_lo:[1,0,0] neg_hi:[1,0,0]
	v_mov_b32_e32 v5, v1
	v_pk_add_f32 v[0:1], v[40:41], v[4:5] neg_lo:[0,1] neg_hi:[0,1]
	s_nop 0
	v_pk_fma_f32 v[4:5], v[40:41], 2.0, v[0:1] op_sel_hi:[1,0,1] neg_lo:[0,0,1] neg_hi:[0,0,1]
	global_store_dwordx2 v[2:3], v[4:5], off offset:2496
	global_store_dwordx2 v[56:57], v[0:1], off offset:3120
.LBB0_30:
	s_endpgm
	.section	.rodata,"a",@progbits
	.p2align	6, 0x0
	.amdhsa_kernel fft_rtc_back_len780_factors_2_3_13_5_2_wgs_234_tpt_78_halfLds_sp_ip_CI_unitstride_sbrr_dirReg
		.amdhsa_group_segment_fixed_size 0
		.amdhsa_private_segment_fixed_size 0
		.amdhsa_kernarg_size 88
		.amdhsa_user_sgpr_count 2
		.amdhsa_user_sgpr_dispatch_ptr 0
		.amdhsa_user_sgpr_queue_ptr 0
		.amdhsa_user_sgpr_kernarg_segment_ptr 1
		.amdhsa_user_sgpr_dispatch_id 0
		.amdhsa_user_sgpr_kernarg_preload_length 0
		.amdhsa_user_sgpr_kernarg_preload_offset 0
		.amdhsa_user_sgpr_private_segment_size 0
		.amdhsa_uses_dynamic_stack 0
		.amdhsa_enable_private_segment 0
		.amdhsa_system_sgpr_workgroup_id_x 1
		.amdhsa_system_sgpr_workgroup_id_y 0
		.amdhsa_system_sgpr_workgroup_id_z 0
		.amdhsa_system_sgpr_workgroup_info 0
		.amdhsa_system_vgpr_workitem_id 0
		.amdhsa_next_free_vgpr 79
		.amdhsa_next_free_sgpr 22
		.amdhsa_accum_offset 80
		.amdhsa_reserve_vcc 1
		.amdhsa_float_round_mode_32 0
		.amdhsa_float_round_mode_16_64 0
		.amdhsa_float_denorm_mode_32 3
		.amdhsa_float_denorm_mode_16_64 3
		.amdhsa_dx10_clamp 1
		.amdhsa_ieee_mode 1
		.amdhsa_fp16_overflow 0
		.amdhsa_tg_split 0
		.amdhsa_exception_fp_ieee_invalid_op 0
		.amdhsa_exception_fp_denorm_src 0
		.amdhsa_exception_fp_ieee_div_zero 0
		.amdhsa_exception_fp_ieee_overflow 0
		.amdhsa_exception_fp_ieee_underflow 0
		.amdhsa_exception_fp_ieee_inexact 0
		.amdhsa_exception_int_div_zero 0
	.end_amdhsa_kernel
	.text
.Lfunc_end0:
	.size	fft_rtc_back_len780_factors_2_3_13_5_2_wgs_234_tpt_78_halfLds_sp_ip_CI_unitstride_sbrr_dirReg, .Lfunc_end0-fft_rtc_back_len780_factors_2_3_13_5_2_wgs_234_tpt_78_halfLds_sp_ip_CI_unitstride_sbrr_dirReg
                                        ; -- End function
	.section	.AMDGPU.csdata,"",@progbits
; Kernel info:
; codeLenInByte = 8220
; NumSgprs: 28
; NumVgprs: 79
; NumAgprs: 0
; TotalNumVgprs: 79
; ScratchSize: 0
; MemoryBound: 0
; FloatMode: 240
; IeeeMode: 1
; LDSByteSize: 0 bytes/workgroup (compile time only)
; SGPRBlocks: 3
; VGPRBlocks: 9
; NumSGPRsForWavesPerEU: 28
; NumVGPRsForWavesPerEU: 79
; AccumOffset: 80
; Occupancy: 6
; WaveLimiterHint : 1
; COMPUTE_PGM_RSRC2:SCRATCH_EN: 0
; COMPUTE_PGM_RSRC2:USER_SGPR: 2
; COMPUTE_PGM_RSRC2:TRAP_HANDLER: 0
; COMPUTE_PGM_RSRC2:TGID_X_EN: 1
; COMPUTE_PGM_RSRC2:TGID_Y_EN: 0
; COMPUTE_PGM_RSRC2:TGID_Z_EN: 0
; COMPUTE_PGM_RSRC2:TIDIG_COMP_CNT: 0
; COMPUTE_PGM_RSRC3_GFX90A:ACCUM_OFFSET: 19
; COMPUTE_PGM_RSRC3_GFX90A:TG_SPLIT: 0
	.text
	.p2alignl 6, 3212836864
	.fill 256, 4, 3212836864
	.type	__hip_cuid_ffbeef5e0621c783,@object ; @__hip_cuid_ffbeef5e0621c783
	.section	.bss,"aw",@nobits
	.globl	__hip_cuid_ffbeef5e0621c783
__hip_cuid_ffbeef5e0621c783:
	.byte	0                               ; 0x0
	.size	__hip_cuid_ffbeef5e0621c783, 1

	.ident	"AMD clang version 19.0.0git (https://github.com/RadeonOpenCompute/llvm-project roc-6.4.0 25133 c7fe45cf4b819c5991fe208aaa96edf142730f1d)"
	.section	".note.GNU-stack","",@progbits
	.addrsig
	.addrsig_sym __hip_cuid_ffbeef5e0621c783
	.amdgpu_metadata
---
amdhsa.kernels:
  - .agpr_count:     0
    .args:
      - .actual_access:  read_only
        .address_space:  global
        .offset:         0
        .size:           8
        .value_kind:     global_buffer
      - .offset:         8
        .size:           8
        .value_kind:     by_value
      - .actual_access:  read_only
        .address_space:  global
        .offset:         16
        .size:           8
        .value_kind:     global_buffer
      - .actual_access:  read_only
        .address_space:  global
        .offset:         24
        .size:           8
        .value_kind:     global_buffer
      - .offset:         32
        .size:           8
        .value_kind:     by_value
      - .actual_access:  read_only
        .address_space:  global
        .offset:         40
        .size:           8
        .value_kind:     global_buffer
      - .actual_access:  read_only
        .address_space:  global
        .offset:         48
        .size:           8
        .value_kind:     global_buffer
      - .offset:         56
        .size:           4
        .value_kind:     by_value
      - .actual_access:  read_only
        .address_space:  global
        .offset:         64
        .size:           8
        .value_kind:     global_buffer
      - .actual_access:  read_only
        .address_space:  global
        .offset:         72
        .size:           8
        .value_kind:     global_buffer
      - .address_space:  global
        .offset:         80
        .size:           8
        .value_kind:     global_buffer
    .group_segment_fixed_size: 0
    .kernarg_segment_align: 8
    .kernarg_segment_size: 88
    .language:       OpenCL C
    .language_version:
      - 2
      - 0
    .max_flat_workgroup_size: 234
    .name:           fft_rtc_back_len780_factors_2_3_13_5_2_wgs_234_tpt_78_halfLds_sp_ip_CI_unitstride_sbrr_dirReg
    .private_segment_fixed_size: 0
    .sgpr_count:     28
    .sgpr_spill_count: 0
    .symbol:         fft_rtc_back_len780_factors_2_3_13_5_2_wgs_234_tpt_78_halfLds_sp_ip_CI_unitstride_sbrr_dirReg.kd
    .uniform_work_group_size: 1
    .uses_dynamic_stack: false
    .vgpr_count:     79
    .vgpr_spill_count: 0
    .wavefront_size: 64
amdhsa.target:   amdgcn-amd-amdhsa--gfx950
amdhsa.version:
  - 1
  - 2
...

	.end_amdgpu_metadata
